;; amdgpu-corpus repo=zjin-lcf/HeCBench kind=compiled arch=gfx1250 opt=O3
	.amdgcn_target "amdgcn-amd-amdhsa--gfx1250"
	.amdhsa_code_object_version 6
	.text
	.protected	_Z4evalPKfPfmi          ; -- Begin function _Z4evalPKfPfmi
	.globl	_Z4evalPKfPfmi
	.p2align	8
	.type	_Z4evalPKfPfmi,@function
_Z4evalPKfPfmi:                         ; @_Z4evalPKfPfmi
; %bb.0:
	s_clause 0x1
	s_load_b32 s4, s[0:1], 0x2c
	s_load_b64 s[2:3], s[0:1], 0x10
	s_bfe_u32 s5, ttmp6, 0x4000c
	s_and_b32 s6, ttmp6, 15
	s_add_co_i32 s5, s5, 1
	s_getreg_b32 s7, hwreg(HW_REG_IB_STS2, 6, 4)
	s_mul_i32 s5, ttmp9, s5
	v_mov_b32_e32 v1, 0
	s_add_co_i32 s6, s6, s5
	s_wait_kmcnt 0x0
	s_and_b32 s4, s4, 0xffff
	s_cmp_eq_u32 s7, 0
	s_cselect_b32 s5, ttmp9, s6
	s_delay_alu instid0(SALU_CYCLE_1) | instskip(NEXT) | instid1(VALU_DEP_1)
	v_mad_u32 v0, s5, s4, v0
	v_cmp_gt_u64_e32 vcc_lo, s[2:3], v[0:1]
	s_and_saveexec_b32 s2, vcc_lo
	s_cbranch_execz .LBB0_16
; %bb.1:
	s_clause 0x1
	s_load_b32 s2, s[0:1], 0x18
	s_load_b128 s[4:7], s[0:1], 0x0
	s_wait_kmcnt 0x0
	s_cmp_lt_i32 s2, 1
	s_cbranch_scc1 .LBB0_12
; %bb.2:
	s_ashr_i32 s3, s2, 31
	v_mov_b32_e32 v3, 0
	v_mul_u64_e32 v[0:1], s[2:3], v[0:1]
	s_mov_b32 s3, 0
	s_mov_b32 s10, 0x7fffff
	s_mov_b64 s[8:9], 0xfe5163ab
	s_mov_b32 s11, 0x3e76c4e1
	s_delay_alu instid0(VALU_DEP_1)
	v_lshl_add_u64 v[4:5], v[0:1], 2, s[4:5]
	v_mov_b32_e32 v1, 0
	s_mov_b32 s4, 0xb94c1982
	s_mov_b32 s5, 0x37d75334
	s_branch .LBB0_4
.LBB0_3:                                ;   in Loop: Header=BB0_4 Depth=1
	s_or_b32 exec_lo, exec_lo, s0
	s_delay_alu instid0(VALU_DEP_1) | instskip(SKIP_3) | instid1(VALU_DEP_4)
	v_dual_mul_f32 v12, v2, v2 :: v_dual_bitop2_b32 v15, 1, v11 bitop3:0x40
	v_xor_b32_e32 v10, v10, v9
	v_add_nc_u64_e32 v[4:5], 4, v[4:5]
	v_lshlrev_b32_e32 v11, 30, v11
	v_fmaak_f32 v13, s4, v12, 0x3c0881c4
	v_cmp_eq_u32_e32 vcc_lo, 0, v15
	s_delay_alu instid0(VALU_DEP_3) | instskip(NEXT) | instid1(VALU_DEP_3)
	v_and_b32_e32 v11, 0x80000000, v11
	v_fmaak_f32 v13, v12, v13, 0xbe2aaa9d
	s_delay_alu instid0(VALU_DEP_1) | instskip(NEXT) | instid1(VALU_DEP_1)
	v_dual_fmaak_f32 v14, s5, v12, 0xbab64f3b :: v_dual_mul_f32 v13, v12, v13
	v_fmaak_f32 v14, v12, v14, 0x3d2aabf7
	s_delay_alu instid0(VALU_DEP_2) | instskip(NEXT) | instid1(VALU_DEP_2)
	v_fmac_f32_e32 v2, v2, v13
	v_fmaak_f32 v14, v12, v14, 0xbf000004
	s_delay_alu instid0(VALU_DEP_1) | instskip(NEXT) | instid1(VALU_DEP_1)
	v_fma_f32 v12, v12, v14, 1.0
	v_cndmask_b32_e32 v2, v12, v2, vcc_lo
	v_cmp_class_f32_e64 vcc_lo, v9, 0x1f8
	s_delay_alu instid0(VALU_DEP_2) | instskip(NEXT) | instid1(VALU_DEP_1)
	v_xor3_b32 v2, v10, v11, v2
	v_cndmask_b32_e32 v2, 0x7fc00000, v2, vcc_lo
	s_delay_alu instid0(VALU_DEP_1) | instskip(NEXT) | instid1(VALU_DEP_1)
	v_frexp_mant_f32_e64 v9, |v2|
	v_cmp_gt_f32_e32 vcc_lo, 0x3f2aaaab, v9
	v_cndmask_b32_e64 v10, 1.0, 2.0, vcc_lo
	s_delay_alu instid0(VALU_DEP_1) | instskip(NEXT) | instid1(VALU_DEP_1)
	v_mul_f32_e32 v9, v9, v10
	v_dual_add_f32 v10, 1.0, v9 :: v_dual_add_f32 v11, -1.0, v9
	s_delay_alu instid0(VALU_DEP_1) | instskip(SKIP_1) | instid1(TRANS32_DEP_1)
	v_rcp_f32_e32 v16, v10
	v_nop
	v_dual_mul_f32 v17, v11, v16 :: v_dual_add_f32 v13, -1.0, v10
	s_delay_alu instid0(VALU_DEP_1) | instskip(NEXT) | instid1(VALU_DEP_2)
	v_mul_f32_e32 v12, v10, v17
	v_sub_f32_e32 v9, v9, v13
	s_delay_alu instid0(VALU_DEP_2) | instskip(NEXT) | instid1(VALU_DEP_1)
	v_fma_f32 v14, v17, v10, -v12
	v_fmac_f32_e32 v14, v17, v9
	s_delay_alu instid0(VALU_DEP_1) | instskip(NEXT) | instid1(VALU_DEP_1)
	v_add_f32_e32 v10, v12, v14
	v_dual_sub_f32 v13, v11, v10 :: v_dual_mov_b32 v15, v10
	s_delay_alu instid0(VALU_DEP_1) | instskip(NEXT) | instid1(VALU_DEP_1)
	v_pk_add_f32 v[10:11], v[10:11], v[12:13] neg_lo:[0,1] neg_hi:[0,1]
	v_pk_add_f32 v[10:11], v[10:11], v[14:15] neg_lo:[0,1] neg_hi:[0,1]
	s_delay_alu instid0(VALU_DEP_1) | instskip(NEXT) | instid1(VALU_DEP_1)
	v_add_f32_e32 v9, v10, v11
	v_add_f32_e32 v9, v13, v9
	s_delay_alu instid0(VALU_DEP_1) | instskip(NEXT) | instid1(VALU_DEP_1)
	v_mul_f32_e32 v9, v16, v9
	v_add_f32_e32 v10, v17, v9
	s_delay_alu instid0(VALU_DEP_1) | instskip(NEXT) | instid1(VALU_DEP_1)
	v_dual_sub_f32 v11, v10, v17 :: v_dual_mul_f32 v13, v10, v10
	v_dual_sub_f32 v9, v9, v11 :: v_dual_fma_f32 v11, v10, v10, -v13
	s_delay_alu instid0(VALU_DEP_1) | instskip(NEXT) | instid1(VALU_DEP_1)
	v_add_f32_e32 v12, v9, v9
	v_fmac_f32_e32 v11, v10, v12
	s_delay_alu instid0(VALU_DEP_1) | instskip(NEXT) | instid1(VALU_DEP_1)
	v_add_f32_e32 v12, v13, v11
	v_dual_fmaak_f32 v14, s11, v12, 0x3e91f4c4 :: v_dual_sub_f32 v13, v12, v13
	s_delay_alu instid0(VALU_DEP_1) | instskip(NEXT) | instid1(VALU_DEP_2)
	v_sub_f32_e32 v20, v11, v13
	v_fmaak_f32 v16, v12, v14, 0x3ecccdef
	v_cvt_f64_f32_e64 v[14:15], |v2|
	s_delay_alu instid0(VALU_DEP_2) | instskip(NEXT) | instid1(VALU_DEP_1)
	v_mul_f32_e32 v17, v12, v16
	v_fma_f32 v11, v12, v16, -v17
	s_delay_alu instid0(VALU_DEP_1) | instskip(NEXT) | instid1(VALU_DEP_1)
	v_fmac_f32_e32 v11, v20, v16
	v_add_f32_e32 v13, v17, v11
	s_delay_alu instid0(VALU_DEP_1) | instskip(SKIP_1) | instid1(VALU_DEP_1)
	v_sub_f32_e32 v16, v13, v17
	v_add_f32_e32 v17, 0x3f2aaaaa, v13
	v_dual_sub_f32 v11, v11, v16 :: v_dual_add_f32 v16, 0xbf2aaaaa, v17
	v_frexp_exp_i32_f64_e32 v21, v[14:15]
	s_delay_alu instid0(VALU_DEP_2) | instskip(NEXT) | instid1(VALU_DEP_3)
	v_add_f32_e32 v11, 0x31739010, v11
	v_sub_f32_e32 v13, v13, v16
	s_delay_alu instid0(VALU_DEP_1) | instskip(NEXT) | instid1(VALU_DEP_1)
	v_pk_mul_f32 v[14:15], v[10:11], v[12:13]
	v_fma_f32 v16, v12, v10, -v14
	v_pk_add_f32 v[18:19], v[10:11], v[12:13]
	s_delay_alu instid0(VALU_DEP_1) | instskip(SKIP_1) | instid1(VALU_DEP_2)
	v_dual_fmac_f32 v16, v12, v9 :: v_dual_mov_b32 v15, v19
	v_ldexp_f32 v9, v9, 1
	v_fmac_f32_e32 v16, v20, v10
	s_delay_alu instid0(VALU_DEP_1) | instskip(SKIP_1) | instid1(VALU_DEP_2)
	v_pk_add_f32 v[12:13], v[14:15], v[16:17]
	v_subrev_co_ci_u32_e64 v11, null, 0, v21, vcc_lo
	v_mov_b32_e32 v18, v13
	s_delay_alu instid0(VALU_DEP_3) | instskip(NEXT) | instid1(VALU_DEP_3)
	v_dual_sub_f32 v15, v17, v13 :: v_dual_sub_f32 v17, v12, v14
	v_cvt_f32_i32_e32 v11, v11
	v_cmp_eq_f32_e32 vcc_lo, 1.0, v2
	s_delay_alu instid0(VALU_DEP_4) | instskip(NEXT) | instid1(VALU_DEP_4)
	v_pk_mul_f32 v[20:21], v[12:13], v[18:19]
	v_sub_f32_e32 v16, v16, v17
	s_delay_alu instid0(VALU_DEP_2) | instskip(NEXT) | instid1(VALU_DEP_1)
	v_dual_fma_f32 v14, v12, v13, -v20 :: v_dual_add_f32 v15, v19, v15
	v_fmac_f32_e32 v14, v12, v15
	s_delay_alu instid0(VALU_DEP_1) | instskip(SKIP_2) | instid1(VALU_DEP_3)
	v_fmac_f32_e32 v14, v16, v13
	v_mul_f32_e32 v18, 0x3f317218, v11
	v_ldexp_f32 v13, v10, 1
	v_add_f32_e32 v19, v20, v14
	s_delay_alu instid0(VALU_DEP_3) | instskip(NEXT) | instid1(VALU_DEP_2)
	v_fma_f32 v12, 0x3f317218, v11, -v18
	v_dual_mov_b32 v21, v13 :: v_dual_mov_b32 v16, v19
	s_delay_alu instid0(VALU_DEP_2) | instskip(NEXT) | instid1(VALU_DEP_1)
	v_dual_fmac_f32 v12, 0xb102e308, v11 :: v_dual_mov_b32 v15, v19
	v_pk_add_f32 v[10:11], v[18:19], v[12:13]
	s_delay_alu instid0(VALU_DEP_1) | instskip(NEXT) | instid1(VALU_DEP_1)
	v_dual_mov_b32 v17, v11 :: v_dual_mov_b32 v13, v10
	v_pk_add_f32 v[16:17], v[16:17], v[20:21] neg_lo:[0,1] neg_hi:[0,1]
	s_delay_alu instid0(VALU_DEP_1) | instskip(NEXT) | instid1(VALU_DEP_1)
	v_pk_add_f32 v[14:15], v[14:15], v[16:17] neg_lo:[0,1] neg_hi:[0,1]
	v_add_f32_e32 v9, v9, v14
	s_delay_alu instid0(VALU_DEP_1) | instskip(NEXT) | instid1(VALU_DEP_1)
	v_add_f32_e32 v19, v9, v15
	v_pk_add_f32 v[14:15], v[10:11], v[18:19]
	v_pk_add_f32 v[16:17], v[10:11], v[18:19] neg_lo:[0,1] neg_hi:[0,1]
	s_delay_alu instid0(VALU_DEP_2) | instskip(NEXT) | instid1(VALU_DEP_1)
	v_dual_mov_b32 v24, v11 :: v_dual_mov_b32 v17, v15
	v_pk_add_f32 v[20:21], v[12:13], v[16:17]
	s_delay_alu instid0(VALU_DEP_1) | instskip(SKIP_1) | instid1(VALU_DEP_2)
	v_dual_mov_b32 v20, v15 :: v_dual_mov_b32 v18, v21
	v_pk_add_f32 v[12:13], v[12:13], v[16:17] neg_lo:[0,1] neg_hi:[0,1]
	v_pk_add_f32 v[22:23], v[18:19], v[10:11] neg_lo:[0,1] neg_hi:[0,1]
	v_dual_mov_b32 v11, v10 :: v_dual_mov_b32 v10, v19
	s_delay_alu instid0(VALU_DEP_2) | instskip(NEXT) | instid1(VALU_DEP_1)
	v_dual_mov_b32 v9, v22 :: v_dual_mov_b32 v25, v22
	v_pk_add_f32 v[14:15], v[14:15], v[8:9] neg_lo:[0,1] neg_hi:[0,1]
	s_delay_alu instid0(VALU_DEP_2) | instskip(SKIP_1) | instid1(VALU_DEP_2)
	v_pk_add_f32 v[16:17], v[20:21], v[24:25] neg_lo:[0,1] neg_hi:[0,1]
	v_mov_b32_e32 v14, v12
	v_pk_add_f32 v[10:11], v[10:11], v[16:17] neg_lo:[0,1] neg_hi:[0,1]
	s_delay_alu instid0(VALU_DEP_1) | instskip(NEXT) | instid1(VALU_DEP_1)
	v_pk_add_f32 v[14:15], v[14:15], v[10:11]
	v_mov_b32_e32 v16, v15
	s_delay_alu instid0(VALU_DEP_1) | instskip(NEXT) | instid1(VALU_DEP_1)
	v_pk_add_f32 v[16:17], v[14:15], v[16:17]
	v_pk_add_f32 v[18:19], v[18:19], v[16:17]
	v_dual_mov_b32 v13, v21 :: v_dual_bitop2_b32 v19, 1, v8 bitop3:0x40
	s_delay_alu instid0(VALU_DEP_2) | instskip(NEXT) | instid1(VALU_DEP_1)
	v_dual_mov_b32 v15, v18 :: v_dual_lshlrev_b32 v8, 30, v8
	v_and_b32_e32 v8, 0x80000000, v8
	s_delay_alu instid0(VALU_DEP_2) | instskip(NEXT) | instid1(VALU_DEP_1)
	v_pk_add_f32 v[20:21], v[14:15], v[12:13] neg_lo:[0,1] neg_hi:[0,1]
	v_dual_mov_b32 v11, v16 :: v_dual_sub_f32 v9, v14, v20
	s_delay_alu instid0(VALU_DEP_1) | instskip(NEXT) | instid1(VALU_DEP_2)
	v_pk_add_f32 v[10:11], v[10:11], v[20:21] neg_lo:[0,1] neg_hi:[0,1]
	v_sub_f32_e32 v9, v12, v9
	s_delay_alu instid0(VALU_DEP_1) | instskip(NEXT) | instid1(VALU_DEP_1)
	v_add_f32_e32 v9, v10, v9
	v_add_f32_e32 v9, v9, v11
	v_cndmask_b32_e64 v11, 0x41a00000, 1.0, vcc_lo
	s_delay_alu instid0(VALU_DEP_2) | instskip(NEXT) | instid1(VALU_DEP_1)
	v_add_f32_e32 v10, v18, v9
	v_sub_f32_e32 v12, v10, v18
	s_delay_alu instid0(VALU_DEP_3) | instskip(NEXT) | instid1(VALU_DEP_1)
	v_mul_f32_e32 v13, v11, v10
	v_dual_fma_f32 v10, v11, v10, -v13 :: v_dual_sub_f32 v9, v9, v12
	v_cmp_class_f32_e64 vcc_lo, v13, 0x204
	s_delay_alu instid0(VALU_DEP_2) | instskip(NEXT) | instid1(VALU_DEP_1)
	v_fmac_f32_e32 v10, v11, v9
	v_add_f32_e32 v9, v13, v10
	s_delay_alu instid0(VALU_DEP_1) | instskip(NEXT) | instid1(VALU_DEP_1)
	v_cndmask_b32_e32 v12, v9, v13, vcc_lo
	v_cmp_eq_f32_e32 vcc_lo, 0x42b17218, v12
	v_cndmask_b32_e64 v14, 0, 0x37000000, vcc_lo
	s_delay_alu instid0(VALU_DEP_1) | instskip(NEXT) | instid1(VALU_DEP_1)
	v_sub_f32_e32 v15, v12, v14
	v_dual_mul_f32 v16, 0x3fb8aa3b, v15 :: v_dual_sub_f32 v9, v9, v13
	s_delay_alu instid0(VALU_DEP_1) | instskip(SKIP_1) | instid1(VALU_DEP_1)
	v_fma_f32 v17, 0x3fb8aa3b, v15, -v16
	v_rndne_f32_e32 v18, v16
	v_dual_fmac_f32 v17, 0x32a5705f, v15 :: v_dual_sub_f32 v16, v16, v18
	v_cvt_i32_f32_e32 v18, v18
	v_cmp_neq_f32_e64 vcc_lo, 0x7f800000, |v12|
	s_delay_alu instid0(VALU_DEP_3) | instskip(NEXT) | instid1(VALU_DEP_1)
	v_dual_add_f32 v16, v16, v17 :: v_dual_mul_f32 v17, v7, v7
	v_exp_f32_e32 v13, v16
	v_nop
	s_delay_alu instid0(VALU_DEP_2) | instskip(SKIP_2) | instid1(VALU_DEP_3)
	v_fmaak_f32 v16, s4, v17, 0x3c0881c4
	v_sub_f32_e32 v9, v10, v9
	v_fmaak_f32 v20, s5, v17, 0xbab64f3b
	v_fmaak_f32 v10, v17, v16, 0xbe2aaa9d
	s_delay_alu instid0(TRANS32_DEP_1) | instskip(NEXT) | instid1(VALU_DEP_4)
	v_ldexp_f32 v13, v13, v18
	v_cndmask_b32_e32 v9, 0, v9, vcc_lo
	v_cmp_ngt_f32_e32 vcc_lo, 0xc2ce8ed0, v15
	s_delay_alu instid0(VALU_DEP_4) | instskip(NEXT) | instid1(VALU_DEP_4)
	v_dual_mul_f32 v16, 0.5, v11 :: v_dual_mul_f32 v10, v17, v10
	v_cndmask_b32_e32 v12, 0, v13, vcc_lo
	v_cmp_nlt_f32_e32 vcc_lo, 0x42b17218, v15
	v_trunc_f32_e32 v13, v11
	s_delay_alu instid0(VALU_DEP_4) | instskip(SKIP_2) | instid1(VALU_DEP_4)
	v_trunc_f32_e32 v18, v16
	v_dual_add_f32 v9, v14, v9 :: v_dual_fmac_f32 v7, v7, v10
	v_cndmask_b32_e32 v12, 0x7f800000, v12, vcc_lo
	v_cmp_eq_f32_e32 vcc_lo, v13, v11
	s_delay_alu instid0(VALU_DEP_4) | instskip(SKIP_1) | instid1(VALU_DEP_4)
	v_cmp_neq_f32_e64 s0, v18, v16
	v_fmaak_f32 v11, v17, v20, 0x3d2aabf7
	v_fma_f32 v9, v12, v9, v12
	v_cmp_class_f32_e64 s1, v12, 0x204
	s_and_b32 s0, vcc_lo, s0
	v_fmaak_f32 v11, v17, v11, 0xbf000004
	v_dual_cndmask_b32 v13, 1.0, v2, s0 :: v_dual_bitop2_b32 v6, v6, v0 bitop3:0x14
	v_cndmask_b32_e64 v9, v9, v12, s1
	v_cmp_eq_f32_e64 s1, 0, v2
	s_delay_alu instid0(VALU_DEP_4) | instskip(SKIP_4) | instid1(VALU_DEP_2)
	v_fma_f32 v10, v17, v11, 1.0
	v_cndmask_b32_e64 v12, 0, v2, s0
	v_cmp_class_f32_e64 s0, v2, 0x204
	v_bfi_b32 v9, 0x7fffffff, v9, v13
	v_cndmask_b32_e64 v11, 0x7f800000, 0, s1
	v_cndmask_b32_e32 v13, 0x7fc00000, v9, vcc_lo
	v_cmp_eq_u32_e32 vcc_lo, 0, v19
	v_cndmask_b32_e32 v7, v10, v7, vcc_lo
	v_cmp_gt_f32_e32 vcc_lo, 0, v2
	v_bfi_b32 v10, 0x7fffffff, v11, v12
	v_cndmask_b32_e32 v9, v9, v13, vcc_lo
	s_or_b32 vcc_lo, s1, s0
	v_xor3_b32 v6, v6, v8, v7
	s_cmp_lg_u32 s2, s3
	s_delay_alu instid0(VALU_DEP_2) | instskip(SKIP_1) | instid1(VALU_DEP_3)
	v_cndmask_b32_e32 v7, v9, v10, vcc_lo
	v_cmp_class_f32_e64 vcc_lo, v0, 0x1f8
	v_cndmask_b32_e32 v0, 0x7fc00000, v6, vcc_lo
	v_cmp_o_f32_e32 vcc_lo, v2, v2
	s_delay_alu instid0(VALU_DEP_4) | instskip(NEXT) | instid1(VALU_DEP_1)
	v_cndmask_b32_e32 v2, 0x7fc00000, v7, vcc_lo
	v_fmac_f32_e32 v1, v0, v2
	s_cbranch_scc0 .LBB0_12
.LBB0_4:                                ; =>This Inner Loop Header: Depth=1
	global_load_b32 v0, v[4:5], off
                                        ; implicit-def: $vgpr8
                                        ; implicit-def: $vgpr7
	s_mov_b32 s1, exec_lo
	s_wait_loadcnt 0x0
	v_and_b32_e32 v6, 0x7fffffff, v0
	v_cmpx_ngt_f32_e64 0x48000000, |v0|
	s_xor_b32 s12, exec_lo, s1
	s_cbranch_execz .LBB0_6
; %bb.5:                                ;   in Loop: Header=BB0_4 Depth=1
	s_delay_alu instid0(VALU_DEP_2) | instskip(SKIP_2) | instid1(VALU_DEP_3)
	v_and_or_b32 v2, v6, s10, 0x800000
	v_dual_lshrrev_b32 v7, 23, v6 :: v_dual_mov_b32 v19, v3
	v_mov_b32_e32 v21, v3
	v_mul_u64_e32 v[8:9], s[8:9], v[2:3]
	v_mov_b32_e32 v11, v3
	s_delay_alu instid0(VALU_DEP_4) | instskip(NEXT) | instid1(VALU_DEP_1)
	v_add_nc_u32_e32 v7, 0xffffff88, v7
	v_cmp_lt_u32_e32 vcc_lo, 63, v7
	s_delay_alu instid0(VALU_DEP_4) | instskip(SKIP_1) | instid1(VALU_DEP_2)
	v_mov_b32_e32 v10, v9
	v_cndmask_b32_e64 v9, 0, 0xffffffc0, vcc_lo
	v_mad_nc_u64_u32 v[10:11], 0x3c439041, v2, v[10:11]
	s_delay_alu instid0(VALU_DEP_2) | instskip(NEXT) | instid1(VALU_DEP_1)
	v_dual_mov_b32 v13, v3 :: v_dual_add_nc_u32 v7, v9, v7
	v_cmp_lt_u32_e64 s0, 31, v7
	s_delay_alu instid0(VALU_DEP_3) | instskip(NEXT) | instid1(VALU_DEP_2)
	v_mov_b32_e32 v12, v11
	v_cndmask_b32_e64 v9, 0, 0xffffffe0, s0
	s_delay_alu instid0(VALU_DEP_2) | instskip(NEXT) | instid1(VALU_DEP_1)
	v_mad_nc_u64_u32 v[12:13], 0xdb629599, v2, v[12:13]
	v_dual_mov_b32 v15, v3 :: v_dual_mov_b32 v14, v13
	s_delay_alu instid0(VALU_DEP_2) | instskip(NEXT) | instid1(VALU_DEP_2)
	v_cndmask_b32_e32 v8, v12, v8, vcc_lo
	v_mad_nc_u64_u32 v[14:15], 0xf534ddc0, v2, v[14:15]
	s_delay_alu instid0(VALU_DEP_1) | instskip(NEXT) | instid1(VALU_DEP_1)
	v_dual_mov_b32 v17, v3 :: v_dual_mov_b32 v16, v15
	v_mad_nc_u64_u32 v[16:17], 0xfc2757d1, v2, v[16:17]
	s_delay_alu instid0(VALU_DEP_1) | instskip(NEXT) | instid1(VALU_DEP_1)
	v_dual_mov_b32 v18, v17 :: v_dual_cndmask_b32 v15, v16, v12
	v_mad_nc_u64_u32 v[18:19], 0x4e441529, v2, v[18:19]
	s_delay_alu instid0(VALU_DEP_1) | instskip(NEXT) | instid1(VALU_DEP_1)
	v_mov_b32_e32 v20, v19
	v_mad_nc_u64_u32 v[20:21], 0xa2f9836e, v2, v[20:21]
	s_delay_alu instid0(VALU_DEP_3) | instskip(NEXT) | instid1(VALU_DEP_1)
	v_dual_cndmask_b32 v9, v18, v14 :: v_dual_add_nc_u32 v2, v9, v7
	v_cmp_lt_u32_e64 s1, 31, v2
	s_delay_alu instid0(VALU_DEP_1) | instskip(NEXT) | instid1(VALU_DEP_4)
	v_cndmask_b32_e64 v7, 0, 0xffffffe0, s1
	v_dual_cndmask_b32 v11, v20, v16, vcc_lo :: v_dual_cndmask_b32 v13, v21, v18, vcc_lo
	s_delay_alu instid0(VALU_DEP_2) | instskip(NEXT) | instid1(VALU_DEP_2)
	v_add_nc_u32_e32 v2, v7, v2
	v_dual_cndmask_b32 v7, v14, v10, vcc_lo :: v_dual_cndmask_b32 v10, v11, v9, s0
	s_delay_alu instid0(VALU_DEP_3) | instskip(NEXT) | instid1(VALU_DEP_3)
	v_cndmask_b32_e64 v11, v13, v11, s0
	v_dual_cndmask_b32 v9, v9, v15, s0 :: v_dual_sub_nc_u32 v13, 32, v2
	s_delay_alu instid0(VALU_DEP_3) | instskip(SKIP_1) | instid1(VALU_DEP_3)
	v_cndmask_b32_e64 v14, v15, v7, s0
	v_cmp_eq_u32_e32 vcc_lo, 0, v2
	v_dual_cndmask_b32 v11, v11, v10, s1 :: v_dual_cndmask_b32 v10, v10, v9, s1
	s_delay_alu instid0(VALU_DEP_1) | instskip(NEXT) | instid1(VALU_DEP_1)
	v_alignbit_b32 v15, v11, v10, v13
	v_dual_cndmask_b32 v9, v9, v14, s1 :: v_dual_cndmask_b32 v2, v15, v11, vcc_lo
	s_delay_alu instid0(VALU_DEP_1) | instskip(NEXT) | instid1(VALU_DEP_1)
	v_alignbit_b32 v12, v10, v9, v13
	v_dual_cndmask_b32 v7, v7, v8, s0 :: v_dual_cndmask_b32 v8, v12, v10, vcc_lo
	s_delay_alu instid0(VALU_DEP_3) | instskip(NEXT) | instid1(VALU_DEP_2)
	v_bfe_u32 v10, v2, 29, 1
	v_cndmask_b32_e64 v7, v14, v7, s1
	s_delay_alu instid0(VALU_DEP_3) | instskip(NEXT) | instid1(VALU_DEP_3)
	v_alignbit_b32 v11, v2, v8, 30
	v_sub_nc_u32_e32 v12, 0, v10
	s_delay_alu instid0(VALU_DEP_3) | instskip(NEXT) | instid1(VALU_DEP_1)
	v_alignbit_b32 v13, v9, v7, v13
	v_dual_cndmask_b32 v9, v13, v9, vcc_lo :: v_dual_bitop2_b32 v11, v11, v12 bitop3:0x14
	s_delay_alu instid0(VALU_DEP_1) | instskip(NEXT) | instid1(VALU_DEP_2)
	v_clz_i32_u32_e32 v13, v11
	v_alignbit_b32 v8, v8, v9, 30
	v_alignbit_b32 v7, v9, v7, 30
	s_delay_alu instid0(VALU_DEP_3) | instskip(NEXT) | instid1(VALU_DEP_3)
	v_min_u32_e32 v13, 32, v13
	v_xor_b32_e32 v8, v8, v12
	s_delay_alu instid0(VALU_DEP_3) | instskip(NEXT) | instid1(VALU_DEP_3)
	v_dual_lshrrev_b32 v12, 29, v2 :: v_dual_bitop2_b32 v7, v7, v12 bitop3:0x14
	v_dual_lshrrev_b32 v2, 30, v2 :: v_dual_sub_nc_u32 v9, 31, v13
	v_lshlrev_b32_e32 v14, 23, v13
	s_delay_alu instid0(VALU_DEP_2) | instskip(NEXT) | instid1(VALU_DEP_4)
	v_alignbit_b32 v11, v11, v8, v9
	v_alignbit_b32 v7, v8, v7, v9
	v_lshlrev_b32_e32 v8, 31, v12
	s_delay_alu instid0(VALU_DEP_2) | instskip(NEXT) | instid1(VALU_DEP_2)
	v_alignbit_b32 v9, v11, v7, 9
	v_dual_lshrrev_b32 v11, 9, v11 :: v_dual_bitop2_b32 v12, 0.5, v8 bitop3:0x54
	v_or_b32_e32 v8, 0x33000000, v8
	s_delay_alu instid0(VALU_DEP_3) | instskip(NEXT) | instid1(VALU_DEP_3)
	v_clz_i32_u32_e32 v15, v9
	v_sub_nc_u32_e32 v12, v12, v14
	s_delay_alu instid0(VALU_DEP_2) | instskip(NEXT) | instid1(VALU_DEP_1)
	v_min_u32_e32 v14, 32, v15
	v_add_lshl_u32 v13, v14, v13, 23
	s_delay_alu instid0(VALU_DEP_3) | instskip(SKIP_1) | instid1(VALU_DEP_2)
	v_or_b32_e32 v11, v11, v12
	v_not_b32_e32 v12, v14
	v_dual_mul_f32 v15, 0x3fc90fda, v11 :: v_dual_sub_nc_u32 v8, v8, v13
	s_delay_alu instid0(VALU_DEP_2) | instskip(NEXT) | instid1(VALU_DEP_2)
	v_alignbit_b32 v7, v9, v7, v12
	v_fma_f32 v9, 0x3fc90fda, v11, -v15
	s_delay_alu instid0(VALU_DEP_2) | instskip(NEXT) | instid1(VALU_DEP_2)
	v_lshrrev_b32_e32 v7, 9, v7
	v_fmac_f32_e32 v9, 0x33a22168, v11
	s_delay_alu instid0(VALU_DEP_2) | instskip(NEXT) | instid1(VALU_DEP_1)
	v_dual_add_nc_u32 v8, v10, v2 :: v_dual_bitop2_b32 v7, v8, v7 bitop3:0x54
	v_fmac_f32_e32 v9, 0x3fc90fda, v7
	s_delay_alu instid0(VALU_DEP_1)
	v_add_f32_e32 v7, v15, v9
.LBB0_6:                                ;   in Loop: Header=BB0_4 Depth=1
	s_and_not1_saveexec_b32 s0, s12
; %bb.7:                                ;   in Loop: Header=BB0_4 Depth=1
	v_mul_f32_e64 v2, 0x3f22f983, |v0|
	s_delay_alu instid0(VALU_DEP_1) | instskip(NEXT) | instid1(VALU_DEP_1)
	v_rndne_f32_e32 v2, v2
	v_fma_f32 v7, 0xbfc90fda, v2, |v0|
	v_cvt_i32_f32_e32 v8, v2
	s_delay_alu instid0(VALU_DEP_2) | instskip(NEXT) | instid1(VALU_DEP_1)
	v_fmac_f32_e32 v7, 0xb3a22168, v2
	v_fmac_f32_e32 v7, 0xa7c234c4, v2
; %bb.8:                                ;   in Loop: Header=BB0_4 Depth=1
	s_or_b32 exec_lo, exec_lo, s0
	s_add_co_i32 s3, s3, 1
	s_mov_b32 s1, exec_lo
	s_cvt_f32_u32 s0, s3
	s_delay_alu instid0(SALU_CYCLE_3) | instskip(NEXT) | instid1(VALU_DEP_1)
	v_mul_f32_e32 v2, s0, v0
	v_mul_f32_e32 v2, v0, v2
	s_delay_alu instid0(VALU_DEP_1) | instskip(SKIP_1) | instid1(VALU_DEP_2)
	v_div_scale_f32 v9, null, 0x40490fdb, 0x40490fdb, v2
	v_div_scale_f32 v12, vcc_lo, v2, 0x40490fdb, v2
	v_rcp_f32_e32 v10, v9
	v_nop
	s_delay_alu instid0(TRANS32_DEP_1) | instskip(NEXT) | instid1(VALU_DEP_1)
	v_fma_f32 v11, -v9, v10, 1.0
	v_fmac_f32_e32 v10, v11, v10
	s_delay_alu instid0(VALU_DEP_1) | instskip(NEXT) | instid1(VALU_DEP_1)
	v_mul_f32_e32 v11, v12, v10
	v_fma_f32 v13, -v9, v11, v12
	s_delay_alu instid0(VALU_DEP_1) | instskip(NEXT) | instid1(VALU_DEP_1)
	v_fmac_f32_e32 v11, v13, v10
	v_fma_f32 v9, -v9, v11, v12
	s_delay_alu instid0(VALU_DEP_1) | instskip(NEXT) | instid1(VALU_DEP_1)
	v_div_fmas_f32 v9, v9, v10, v11
                                        ; implicit-def: $vgpr11
	v_div_fixup_f32 v9, v9, 0x40490fdb, v2
                                        ; implicit-def: $vgpr2
	s_delay_alu instid0(VALU_DEP_1)
	v_and_b32_e32 v10, 0x7fffffff, v9
	v_cmpx_ngt_f32_e64 0x48000000, |v9|
	s_xor_b32 s12, exec_lo, s1
	s_cbranch_execz .LBB0_10
; %bb.9:                                ;   in Loop: Header=BB0_4 Depth=1
	s_delay_alu instid0(VALU_DEP_2) | instskip(SKIP_2) | instid1(VALU_DEP_3)
	v_and_or_b32 v2, v10, s10, 0x800000
	v_dual_lshrrev_b32 v11, 23, v10 :: v_dual_mov_b32 v23, v3
	v_mov_b32_e32 v25, v3
	v_mul_u64_e32 v[12:13], s[8:9], v[2:3]
	v_mov_b32_e32 v15, v3
	s_delay_alu instid0(VALU_DEP_4) | instskip(NEXT) | instid1(VALU_DEP_1)
	v_add_nc_u32_e32 v11, 0xffffff88, v11
	v_cmp_lt_u32_e32 vcc_lo, 63, v11
	s_delay_alu instid0(VALU_DEP_4) | instskip(SKIP_1) | instid1(VALU_DEP_2)
	v_mov_b32_e32 v14, v13
	v_cndmask_b32_e64 v13, 0, 0xffffffc0, vcc_lo
	v_mad_nc_u64_u32 v[14:15], 0x3c439041, v2, v[14:15]
	s_delay_alu instid0(VALU_DEP_2) | instskip(NEXT) | instid1(VALU_DEP_1)
	v_dual_mov_b32 v17, v3 :: v_dual_add_nc_u32 v11, v13, v11
	v_cmp_lt_u32_e64 s0, 31, v11
	s_delay_alu instid0(VALU_DEP_3) | instskip(NEXT) | instid1(VALU_DEP_2)
	v_mov_b32_e32 v16, v15
	v_cndmask_b32_e64 v13, 0, 0xffffffe0, s0
	s_delay_alu instid0(VALU_DEP_2) | instskip(NEXT) | instid1(VALU_DEP_1)
	v_mad_nc_u64_u32 v[16:17], 0xdb629599, v2, v[16:17]
	v_dual_mov_b32 v19, v3 :: v_dual_mov_b32 v18, v17
	s_delay_alu instid0(VALU_DEP_2) | instskip(NEXT) | instid1(VALU_DEP_2)
	v_cndmask_b32_e32 v12, v16, v12, vcc_lo
	v_mad_nc_u64_u32 v[18:19], 0xf534ddc0, v2, v[18:19]
	s_delay_alu instid0(VALU_DEP_1) | instskip(NEXT) | instid1(VALU_DEP_1)
	v_dual_mov_b32 v21, v3 :: v_dual_mov_b32 v20, v19
	v_mad_nc_u64_u32 v[20:21], 0xfc2757d1, v2, v[20:21]
	s_delay_alu instid0(VALU_DEP_1) | instskip(NEXT) | instid1(VALU_DEP_1)
	v_dual_mov_b32 v22, v21 :: v_dual_cndmask_b32 v19, v20, v16
	v_mad_nc_u64_u32 v[22:23], 0x4e441529, v2, v[22:23]
	s_delay_alu instid0(VALU_DEP_1) | instskip(NEXT) | instid1(VALU_DEP_1)
	v_mov_b32_e32 v24, v23
	v_mad_nc_u64_u32 v[24:25], 0xa2f9836e, v2, v[24:25]
	s_delay_alu instid0(VALU_DEP_3) | instskip(NEXT) | instid1(VALU_DEP_1)
	v_dual_cndmask_b32 v13, v22, v18 :: v_dual_add_nc_u32 v2, v13, v11
	v_cmp_lt_u32_e64 s1, 31, v2
	s_delay_alu instid0(VALU_DEP_1) | instskip(NEXT) | instid1(VALU_DEP_4)
	v_cndmask_b32_e64 v11, 0, 0xffffffe0, s1
	v_dual_cndmask_b32 v15, v24, v20, vcc_lo :: v_dual_cndmask_b32 v17, v25, v22, vcc_lo
	s_delay_alu instid0(VALU_DEP_2) | instskip(NEXT) | instid1(VALU_DEP_2)
	v_add_nc_u32_e32 v2, v11, v2
	v_dual_cndmask_b32 v11, v18, v14, vcc_lo :: v_dual_cndmask_b32 v14, v15, v13, s0
	s_delay_alu instid0(VALU_DEP_3) | instskip(NEXT) | instid1(VALU_DEP_3)
	v_cndmask_b32_e64 v15, v17, v15, s0
	v_dual_cndmask_b32 v13, v13, v19, s0 :: v_dual_sub_nc_u32 v17, 32, v2
	s_delay_alu instid0(VALU_DEP_3) | instskip(SKIP_1) | instid1(VALU_DEP_3)
	v_cndmask_b32_e64 v18, v19, v11, s0
	v_cmp_eq_u32_e32 vcc_lo, 0, v2
	v_dual_cndmask_b32 v15, v15, v14, s1 :: v_dual_cndmask_b32 v14, v14, v13, s1
	s_delay_alu instid0(VALU_DEP_1) | instskip(NEXT) | instid1(VALU_DEP_1)
	v_alignbit_b32 v19, v15, v14, v17
	v_dual_cndmask_b32 v13, v13, v18, s1 :: v_dual_cndmask_b32 v2, v19, v15, vcc_lo
	s_delay_alu instid0(VALU_DEP_1) | instskip(NEXT) | instid1(VALU_DEP_1)
	v_alignbit_b32 v16, v14, v13, v17
	v_dual_cndmask_b32 v11, v11, v12, s0 :: v_dual_cndmask_b32 v12, v16, v14, vcc_lo
	s_delay_alu instid0(VALU_DEP_3) | instskip(NEXT) | instid1(VALU_DEP_2)
	v_bfe_u32 v14, v2, 29, 1
	v_cndmask_b32_e64 v11, v18, v11, s1
	s_delay_alu instid0(VALU_DEP_3) | instskip(NEXT) | instid1(VALU_DEP_3)
	v_alignbit_b32 v15, v2, v12, 30
	v_sub_nc_u32_e32 v16, 0, v14
	s_delay_alu instid0(VALU_DEP_3) | instskip(NEXT) | instid1(VALU_DEP_1)
	v_alignbit_b32 v17, v13, v11, v17
	v_dual_cndmask_b32 v13, v17, v13, vcc_lo :: v_dual_bitop2_b32 v15, v15, v16 bitop3:0x14
	s_delay_alu instid0(VALU_DEP_1) | instskip(NEXT) | instid1(VALU_DEP_2)
	v_clz_i32_u32_e32 v17, v15
	v_alignbit_b32 v12, v12, v13, 30
	v_alignbit_b32 v11, v13, v11, 30
	s_delay_alu instid0(VALU_DEP_3) | instskip(NEXT) | instid1(VALU_DEP_3)
	v_min_u32_e32 v17, 32, v17
	v_xor_b32_e32 v12, v12, v16
	s_delay_alu instid0(VALU_DEP_3) | instskip(NEXT) | instid1(VALU_DEP_3)
	v_dual_lshrrev_b32 v16, 29, v2 :: v_dual_bitop2_b32 v11, v11, v16 bitop3:0x14
	v_dual_sub_nc_u32 v13, 31, v17 :: v_dual_lshlrev_b32 v18, 23, v17
	s_delay_alu instid0(VALU_DEP_1) | instskip(NEXT) | instid1(VALU_DEP_3)
	v_alignbit_b32 v15, v15, v12, v13
	v_alignbit_b32 v11, v12, v11, v13
	s_delay_alu instid0(VALU_DEP_4) | instskip(NEXT) | instid1(VALU_DEP_2)
	v_lshlrev_b32_e32 v12, 31, v16
	v_alignbit_b32 v13, v15, v11, 9
	s_delay_alu instid0(VALU_DEP_2) | instskip(SKIP_1) | instid1(VALU_DEP_3)
	v_dual_lshrrev_b32 v15, 9, v15 :: v_dual_bitop2_b32 v16, 0.5, v12 bitop3:0x54
	v_or_b32_e32 v12, 0x33000000, v12
	v_clz_i32_u32_e32 v19, v13
	s_delay_alu instid0(VALU_DEP_3) | instskip(NEXT) | instid1(VALU_DEP_2)
	v_sub_nc_u32_e32 v16, v16, v18
	v_min_u32_e32 v18, 32, v19
	s_delay_alu instid0(VALU_DEP_1) | instskip(NEXT) | instid1(VALU_DEP_3)
	v_add_lshl_u32 v17, v18, v17, 23
	v_or_b32_e32 v15, v15, v16
	v_not_b32_e32 v16, v18
	s_delay_alu instid0(VALU_DEP_2) | instskip(NEXT) | instid1(VALU_DEP_2)
	v_dual_mul_f32 v19, 0x3fc90fda, v15 :: v_dual_sub_nc_u32 v12, v12, v17
	v_alignbit_b32 v11, v13, v11, v16
	s_delay_alu instid0(VALU_DEP_2) | instskip(NEXT) | instid1(VALU_DEP_2)
	v_fma_f32 v13, 0x3fc90fda, v15, -v19
	v_lshrrev_b32_e32 v11, 9, v11
	s_delay_alu instid0(VALU_DEP_2) | instskip(NEXT) | instid1(VALU_DEP_2)
	v_fmac_f32_e32 v13, 0x33a22168, v15
	v_or_b32_e32 v11, v12, v11
	s_delay_alu instid0(VALU_DEP_1) | instskip(NEXT) | instid1(VALU_DEP_1)
	v_fmac_f32_e32 v13, 0x3fc90fda, v11
	v_dual_add_f32 v2, v19, v13 :: v_dual_lshrrev_b32 v11, 30, v2
	s_delay_alu instid0(VALU_DEP_1)
	v_add_nc_u32_e32 v11, v14, v11
.LBB0_10:                               ;   in Loop: Header=BB0_4 Depth=1
	s_and_not1_saveexec_b32 s0, s12
	s_cbranch_execz .LBB0_3
; %bb.11:                               ;   in Loop: Header=BB0_4 Depth=1
	v_mul_f32_e64 v2, 0x3f22f983, |v9|
	s_delay_alu instid0(VALU_DEP_1) | instskip(NEXT) | instid1(VALU_DEP_1)
	v_rndne_f32_e32 v11, v2
	v_fma_f32 v2, 0xbfc90fda, v11, |v9|
	s_delay_alu instid0(VALU_DEP_1) | instskip(NEXT) | instid1(VALU_DEP_1)
	v_fmac_f32_e32 v2, 0xb3a22168, v11
	v_fmac_f32_e32 v2, 0xa7c234c4, v11
	v_cvt_i32_f32_e32 v11, v11
	s_branch .LBB0_3
.LBB0_12:
	v_mov_b32_e32 v0, 0x7fc00000
	s_delay_alu instid0(VALU_DEP_2)
	v_xor_b32_e32 v1, 0x80000000, v1
	s_mov_b32 s0, exec_lo
.LBB0_13:                               ; =>This Inner Loop Header: Depth=1
	s_delay_alu instid0(SALU_CYCLE_1) | instskip(NEXT) | instid1(VALU_DEP_1)
	s_ctz_i32_b32 s1, s0
	v_max_num_f32_e32 v0, v0, v0
	s_delay_alu instid0(VALU_DEP_2) | instskip(SKIP_1) | instid1(SALU_CYCLE_1)
	v_readlane_b32 s2, v1, s1
	s_lshl_b32 s1, 1, s1
	s_and_not1_b32 s0, s0, s1
	s_delay_alu instid0(SALU_CYCLE_1) | instskip(SKIP_1) | instid1(VALU_DEP_1)
	s_cmp_lg_u32 s0, 0
	v_max_num_f32_e64 v2, s2, s2
	v_min_num_f32_e32 v0, v0, v2
	s_cbranch_scc1 .LBB0_13
; %bb.14:
	v_mbcnt_lo_u32_b32 v1, exec_lo, 0
	s_mov_b32 s0, exec_lo
	s_delay_alu instid0(VALU_DEP_1)
	v_cmpx_eq_u32_e32 0, v1
	s_xor_b32 s0, exec_lo, s0
	s_cbranch_execz .LBB0_16
; %bb.15:
	v_mov_b32_e32 v1, 0
	global_atomic_min_num_f32 v1, v0, s[6:7] scope:SCOPE_DEV
.LBB0_16:
	s_endpgm
	.section	.rodata,"a",@progbits
	.p2align	6, 0x0
	.amdhsa_kernel _Z4evalPKfPfmi
		.amdhsa_group_segment_fixed_size 0
		.amdhsa_private_segment_fixed_size 0
		.amdhsa_kernarg_size 288
		.amdhsa_user_sgpr_count 2
		.amdhsa_user_sgpr_dispatch_ptr 0
		.amdhsa_user_sgpr_queue_ptr 0
		.amdhsa_user_sgpr_kernarg_segment_ptr 1
		.amdhsa_user_sgpr_dispatch_id 0
		.amdhsa_user_sgpr_kernarg_preload_length 0
		.amdhsa_user_sgpr_kernarg_preload_offset 0
		.amdhsa_user_sgpr_private_segment_size 0
		.amdhsa_wavefront_size32 1
		.amdhsa_uses_dynamic_stack 0
		.amdhsa_enable_private_segment 0
		.amdhsa_system_sgpr_workgroup_id_x 1
		.amdhsa_system_sgpr_workgroup_id_y 0
		.amdhsa_system_sgpr_workgroup_id_z 0
		.amdhsa_system_sgpr_workgroup_info 0
		.amdhsa_system_vgpr_workitem_id 0
		.amdhsa_next_free_vgpr 26
		.amdhsa_next_free_sgpr 13
		.amdhsa_named_barrier_count 0
		.amdhsa_reserve_vcc 1
		.amdhsa_float_round_mode_32 0
		.amdhsa_float_round_mode_16_64 0
		.amdhsa_float_denorm_mode_32 3
		.amdhsa_float_denorm_mode_16_64 3
		.amdhsa_fp16_overflow 0
		.amdhsa_memory_ordered 1
		.amdhsa_forward_progress 1
		.amdhsa_inst_pref_size 29
		.amdhsa_round_robin_scheduling 0
		.amdhsa_exception_fp_ieee_invalid_op 0
		.amdhsa_exception_fp_denorm_src 0
		.amdhsa_exception_fp_ieee_div_zero 0
		.amdhsa_exception_fp_ieee_overflow 0
		.amdhsa_exception_fp_ieee_underflow 0
		.amdhsa_exception_fp_ieee_inexact 0
		.amdhsa_exception_int_div_zero 0
	.end_amdhsa_kernel
	.text
.Lfunc_end0:
	.size	_Z4evalPKfPfmi, .Lfunc_end0-_Z4evalPKfPfmi
                                        ; -- End function
	.set _Z4evalPKfPfmi.num_vgpr, 26
	.set _Z4evalPKfPfmi.num_agpr, 0
	.set _Z4evalPKfPfmi.numbered_sgpr, 13
	.set _Z4evalPKfPfmi.num_named_barrier, 0
	.set _Z4evalPKfPfmi.private_seg_size, 0
	.set _Z4evalPKfPfmi.uses_vcc, 1
	.set _Z4evalPKfPfmi.uses_flat_scratch, 0
	.set _Z4evalPKfPfmi.has_dyn_sized_stack, 0
	.set _Z4evalPKfPfmi.has_recursion, 0
	.set _Z4evalPKfPfmi.has_indirect_call, 0
	.section	.AMDGPU.csdata,"",@progbits
; Kernel info:
; codeLenInByte = 3636
; TotalNumSgprs: 15
; NumVgprs: 26
; ScratchSize: 0
; MemoryBound: 0
; FloatMode: 240
; IeeeMode: 1
; LDSByteSize: 0 bytes/workgroup (compile time only)
; SGPRBlocks: 0
; VGPRBlocks: 1
; NumSGPRsForWavesPerEU: 15
; NumVGPRsForWavesPerEU: 26
; NamedBarCnt: 0
; Occupancy: 16
; WaveLimiterHint : 0
; COMPUTE_PGM_RSRC2:SCRATCH_EN: 0
; COMPUTE_PGM_RSRC2:USER_SGPR: 2
; COMPUTE_PGM_RSRC2:TRAP_HANDLER: 0
; COMPUTE_PGM_RSRC2:TGID_X_EN: 1
; COMPUTE_PGM_RSRC2:TGID_Y_EN: 0
; COMPUTE_PGM_RSRC2:TGID_Z_EN: 0
; COMPUTE_PGM_RSRC2:TIDIG_COMP_CNT: 0
	.text
	.p2alignl 7, 3214868480
	.fill 96, 4, 3214868480
	.section	.AMDGPU.gpr_maximums,"",@progbits
	.set amdgpu.max_num_vgpr, 0
	.set amdgpu.max_num_agpr, 0
	.set amdgpu.max_num_sgpr, 0
	.text
	.type	__hip_cuid_1494b17e2ff34fc3,@object ; @__hip_cuid_1494b17e2ff34fc3
	.section	.bss,"aw",@nobits
	.globl	__hip_cuid_1494b17e2ff34fc3
__hip_cuid_1494b17e2ff34fc3:
	.byte	0                               ; 0x0
	.size	__hip_cuid_1494b17e2ff34fc3, 1

	.ident	"AMD clang version 22.0.0git (https://github.com/RadeonOpenCompute/llvm-project roc-7.2.4 26084 f58b06dce1f9c15707c5f808fd002e18c2accf7e)"
	.section	".note.GNU-stack","",@progbits
	.addrsig
	.addrsig_sym __hip_cuid_1494b17e2ff34fc3
	.amdgpu_metadata
---
amdhsa.kernels:
  - .args:
      - .address_space:  global
        .offset:         0
        .size:           8
        .value_kind:     global_buffer
      - .address_space:  global
        .offset:         8
        .size:           8
        .value_kind:     global_buffer
      - .offset:         16
        .size:           8
        .value_kind:     by_value
      - .offset:         24
        .size:           4
        .value_kind:     by_value
      - .offset:         32
        .size:           4
        .value_kind:     hidden_block_count_x
      - .offset:         36
        .size:           4
        .value_kind:     hidden_block_count_y
      - .offset:         40
        .size:           4
        .value_kind:     hidden_block_count_z
      - .offset:         44
        .size:           2
        .value_kind:     hidden_group_size_x
      - .offset:         46
        .size:           2
        .value_kind:     hidden_group_size_y
      - .offset:         48
        .size:           2
        .value_kind:     hidden_group_size_z
      - .offset:         50
        .size:           2
        .value_kind:     hidden_remainder_x
      - .offset:         52
        .size:           2
        .value_kind:     hidden_remainder_y
      - .offset:         54
        .size:           2
        .value_kind:     hidden_remainder_z
      - .offset:         72
        .size:           8
        .value_kind:     hidden_global_offset_x
      - .offset:         80
        .size:           8
        .value_kind:     hidden_global_offset_y
      - .offset:         88
        .size:           8
        .value_kind:     hidden_global_offset_z
      - .offset:         96
        .size:           2
        .value_kind:     hidden_grid_dims
    .group_segment_fixed_size: 0
    .kernarg_segment_align: 8
    .kernarg_segment_size: 288
    .language:       OpenCL C
    .language_version:
      - 2
      - 0
    .max_flat_workgroup_size: 1024
    .name:           _Z4evalPKfPfmi
    .private_segment_fixed_size: 0
    .sgpr_count:     15
    .sgpr_spill_count: 0
    .symbol:         _Z4evalPKfPfmi.kd
    .uniform_work_group_size: 1
    .uses_dynamic_stack: false
    .vgpr_count:     26
    .vgpr_spill_count: 0
    .wavefront_size: 32
amdhsa.target:   amdgcn-amd-amdhsa--gfx1250
amdhsa.version:
  - 1
  - 2
...

	.end_amdgpu_metadata
